;; amdgpu-corpus repo=ROCm/rocFFT kind=compiled arch=gfx906 opt=O3
	.text
	.amdgcn_target "amdgcn-amd-amdhsa--gfx906"
	.amdhsa_code_object_version 6
	.protected	fft_rtc_fwd_len504_factors_7_9_4_2_wgs_63_tpt_63_sp_op_CI_CI_unitstride_sbrr_C2R_dirReg ; -- Begin function fft_rtc_fwd_len504_factors_7_9_4_2_wgs_63_tpt_63_sp_op_CI_CI_unitstride_sbrr_C2R_dirReg
	.globl	fft_rtc_fwd_len504_factors_7_9_4_2_wgs_63_tpt_63_sp_op_CI_CI_unitstride_sbrr_C2R_dirReg
	.p2align	8
	.type	fft_rtc_fwd_len504_factors_7_9_4_2_wgs_63_tpt_63_sp_op_CI_CI_unitstride_sbrr_C2R_dirReg,@function
fft_rtc_fwd_len504_factors_7_9_4_2_wgs_63_tpt_63_sp_op_CI_CI_unitstride_sbrr_C2R_dirReg: ; @fft_rtc_fwd_len504_factors_7_9_4_2_wgs_63_tpt_63_sp_op_CI_CI_unitstride_sbrr_C2R_dirReg
; %bb.0:
	s_load_dwordx4 s[8:11], s[4:5], 0x58
	s_load_dwordx4 s[12:15], s[4:5], 0x0
	;; [unrolled: 1-line block ×3, first 2 shown]
	v_mul_u32_u24_e32 v1, 0x411, v0
	v_add_u32_sdwa v5, s6, v1 dst_sel:DWORD dst_unused:UNUSED_PAD src0_sel:DWORD src1_sel:WORD_1
	v_mov_b32_e32 v3, 0
	s_waitcnt lgkmcnt(0)
	v_cmp_lt_u64_e64 s[0:1], s[14:15], 2
	v_mov_b32_e32 v1, 0
	v_mov_b32_e32 v6, v3
	s_and_b64 vcc, exec, s[0:1]
	v_mov_b32_e32 v2, 0
	s_cbranch_vccnz .LBB0_8
; %bb.1:
	s_load_dwordx2 s[0:1], s[4:5], 0x10
	s_add_u32 s2, s18, 8
	s_addc_u32 s3, s19, 0
	s_add_u32 s6, s16, 8
	v_mov_b32_e32 v1, 0
	s_addc_u32 s7, s17, 0
	v_mov_b32_e32 v2, 0
	s_waitcnt lgkmcnt(0)
	s_add_u32 s20, s0, 8
	v_mov_b32_e32 v17, v2
	s_addc_u32 s21, s1, 0
	s_mov_b64 s[22:23], 1
	v_mov_b32_e32 v16, v1
.LBB0_2:                                ; =>This Inner Loop Header: Depth=1
	s_load_dwordx2 s[24:25], s[20:21], 0x0
                                        ; implicit-def: $vgpr18_vgpr19
	s_waitcnt lgkmcnt(0)
	v_or_b32_e32 v4, s25, v6
	v_cmp_ne_u64_e32 vcc, 0, v[3:4]
	s_and_saveexec_b64 s[0:1], vcc
	s_xor_b64 s[26:27], exec, s[0:1]
	s_cbranch_execz .LBB0_4
; %bb.3:                                ;   in Loop: Header=BB0_2 Depth=1
	v_cvt_f32_u32_e32 v4, s24
	v_cvt_f32_u32_e32 v7, s25
	s_sub_u32 s0, 0, s24
	s_subb_u32 s1, 0, s25
	v_mac_f32_e32 v4, 0x4f800000, v7
	v_rcp_f32_e32 v4, v4
	v_mul_f32_e32 v4, 0x5f7ffffc, v4
	v_mul_f32_e32 v7, 0x2f800000, v4
	v_trunc_f32_e32 v7, v7
	v_mac_f32_e32 v4, 0xcf800000, v7
	v_cvt_u32_f32_e32 v7, v7
	v_cvt_u32_f32_e32 v4, v4
	v_mul_lo_u32 v8, s0, v7
	v_mul_hi_u32 v9, s0, v4
	v_mul_lo_u32 v11, s1, v4
	v_mul_lo_u32 v10, s0, v4
	v_add_u32_e32 v8, v9, v8
	v_add_u32_e32 v8, v8, v11
	v_mul_hi_u32 v9, v4, v10
	v_mul_lo_u32 v11, v4, v8
	v_mul_hi_u32 v13, v4, v8
	v_mul_hi_u32 v12, v7, v10
	v_mul_lo_u32 v10, v7, v10
	v_mul_hi_u32 v14, v7, v8
	v_add_co_u32_e32 v9, vcc, v9, v11
	v_addc_co_u32_e32 v11, vcc, 0, v13, vcc
	v_mul_lo_u32 v8, v7, v8
	v_add_co_u32_e32 v9, vcc, v9, v10
	v_addc_co_u32_e32 v9, vcc, v11, v12, vcc
	v_addc_co_u32_e32 v10, vcc, 0, v14, vcc
	v_add_co_u32_e32 v8, vcc, v9, v8
	v_addc_co_u32_e32 v9, vcc, 0, v10, vcc
	v_add_co_u32_e32 v4, vcc, v4, v8
	v_addc_co_u32_e32 v7, vcc, v7, v9, vcc
	v_mul_lo_u32 v8, s0, v7
	v_mul_hi_u32 v9, s0, v4
	v_mul_lo_u32 v10, s1, v4
	v_mul_lo_u32 v11, s0, v4
	v_add_u32_e32 v8, v9, v8
	v_add_u32_e32 v8, v8, v10
	v_mul_lo_u32 v12, v4, v8
	v_mul_hi_u32 v13, v4, v11
	v_mul_hi_u32 v14, v4, v8
	v_mul_hi_u32 v10, v7, v11
	v_mul_lo_u32 v11, v7, v11
	v_mul_hi_u32 v9, v7, v8
	v_add_co_u32_e32 v12, vcc, v13, v12
	v_addc_co_u32_e32 v13, vcc, 0, v14, vcc
	v_mul_lo_u32 v8, v7, v8
	v_add_co_u32_e32 v11, vcc, v12, v11
	v_addc_co_u32_e32 v10, vcc, v13, v10, vcc
	v_addc_co_u32_e32 v9, vcc, 0, v9, vcc
	v_add_co_u32_e32 v8, vcc, v10, v8
	v_addc_co_u32_e32 v9, vcc, 0, v9, vcc
	v_add_co_u32_e32 v4, vcc, v4, v8
	v_addc_co_u32_e32 v9, vcc, v7, v9, vcc
	v_mad_u64_u32 v[7:8], s[0:1], v5, v9, 0
	v_mul_hi_u32 v10, v5, v4
	v_add_co_u32_e32 v11, vcc, v10, v7
	v_addc_co_u32_e32 v12, vcc, 0, v8, vcc
	v_mad_u64_u32 v[7:8], s[0:1], v6, v4, 0
	v_mad_u64_u32 v[9:10], s[0:1], v6, v9, 0
	v_add_co_u32_e32 v4, vcc, v11, v7
	v_addc_co_u32_e32 v4, vcc, v12, v8, vcc
	v_addc_co_u32_e32 v7, vcc, 0, v10, vcc
	v_add_co_u32_e32 v4, vcc, v4, v9
	v_addc_co_u32_e32 v9, vcc, 0, v7, vcc
	v_mul_lo_u32 v10, s25, v4
	v_mul_lo_u32 v11, s24, v9
	v_mad_u64_u32 v[7:8], s[0:1], s24, v4, 0
	v_add3_u32 v8, v8, v11, v10
	v_sub_u32_e32 v10, v6, v8
	v_mov_b32_e32 v11, s25
	v_sub_co_u32_e32 v7, vcc, v5, v7
	v_subb_co_u32_e64 v10, s[0:1], v10, v11, vcc
	v_subrev_co_u32_e64 v11, s[0:1], s24, v7
	v_subbrev_co_u32_e64 v10, s[0:1], 0, v10, s[0:1]
	v_cmp_le_u32_e64 s[0:1], s25, v10
	v_cndmask_b32_e64 v12, 0, -1, s[0:1]
	v_cmp_le_u32_e64 s[0:1], s24, v11
	v_cndmask_b32_e64 v11, 0, -1, s[0:1]
	v_cmp_eq_u32_e64 s[0:1], s25, v10
	v_cndmask_b32_e64 v10, v12, v11, s[0:1]
	v_add_co_u32_e64 v11, s[0:1], 2, v4
	v_addc_co_u32_e64 v12, s[0:1], 0, v9, s[0:1]
	v_add_co_u32_e64 v13, s[0:1], 1, v4
	v_addc_co_u32_e64 v14, s[0:1], 0, v9, s[0:1]
	v_subb_co_u32_e32 v8, vcc, v6, v8, vcc
	v_cmp_ne_u32_e64 s[0:1], 0, v10
	v_cmp_le_u32_e32 vcc, s25, v8
	v_cndmask_b32_e64 v10, v14, v12, s[0:1]
	v_cndmask_b32_e64 v12, 0, -1, vcc
	v_cmp_le_u32_e32 vcc, s24, v7
	v_cndmask_b32_e64 v7, 0, -1, vcc
	v_cmp_eq_u32_e32 vcc, s25, v8
	v_cndmask_b32_e32 v7, v12, v7, vcc
	v_cmp_ne_u32_e32 vcc, 0, v7
	v_cndmask_b32_e64 v7, v13, v11, s[0:1]
	v_cndmask_b32_e32 v19, v9, v10, vcc
	v_cndmask_b32_e32 v18, v4, v7, vcc
.LBB0_4:                                ;   in Loop: Header=BB0_2 Depth=1
	s_andn2_saveexec_b64 s[0:1], s[26:27]
	s_cbranch_execz .LBB0_6
; %bb.5:                                ;   in Loop: Header=BB0_2 Depth=1
	v_cvt_f32_u32_e32 v4, s24
	s_sub_i32 s26, 0, s24
	v_mov_b32_e32 v19, v3
	v_rcp_iflag_f32_e32 v4, v4
	v_mul_f32_e32 v4, 0x4f7ffffe, v4
	v_cvt_u32_f32_e32 v4, v4
	v_mul_lo_u32 v7, s26, v4
	v_mul_hi_u32 v7, v4, v7
	v_add_u32_e32 v4, v4, v7
	v_mul_hi_u32 v4, v5, v4
	v_mul_lo_u32 v7, v4, s24
	v_add_u32_e32 v8, 1, v4
	v_sub_u32_e32 v7, v5, v7
	v_subrev_u32_e32 v9, s24, v7
	v_cmp_le_u32_e32 vcc, s24, v7
	v_cndmask_b32_e32 v7, v7, v9, vcc
	v_cndmask_b32_e32 v4, v4, v8, vcc
	v_add_u32_e32 v8, 1, v4
	v_cmp_le_u32_e32 vcc, s24, v7
	v_cndmask_b32_e32 v18, v4, v8, vcc
.LBB0_6:                                ;   in Loop: Header=BB0_2 Depth=1
	s_or_b64 exec, exec, s[0:1]
	v_mul_lo_u32 v4, v19, s24
	v_mul_lo_u32 v9, v18, s25
	v_mad_u64_u32 v[7:8], s[0:1], v18, s24, 0
	s_load_dwordx2 s[0:1], s[6:7], 0x0
	s_load_dwordx2 s[24:25], s[2:3], 0x0
	v_add3_u32 v4, v8, v9, v4
	v_sub_co_u32_e32 v5, vcc, v5, v7
	v_subb_co_u32_e32 v4, vcc, v6, v4, vcc
	s_waitcnt lgkmcnt(0)
	v_mul_lo_u32 v6, s0, v4
	v_mul_lo_u32 v7, s1, v5
	v_mad_u64_u32 v[1:2], s[0:1], s0, v5, v[1:2]
	v_mul_lo_u32 v4, s24, v4
	v_mul_lo_u32 v8, s25, v5
	v_mad_u64_u32 v[16:17], s[0:1], s24, v5, v[16:17]
	s_add_u32 s22, s22, 1
	s_addc_u32 s23, s23, 0
	s_add_u32 s2, s2, 8
	v_add3_u32 v17, v8, v17, v4
	s_addc_u32 s3, s3, 0
	v_mov_b32_e32 v4, s14
	s_add_u32 s6, s6, 8
	v_mov_b32_e32 v5, s15
	s_addc_u32 s7, s7, 0
	v_cmp_ge_u64_e32 vcc, s[22:23], v[4:5]
	s_add_u32 s20, s20, 8
	v_add3_u32 v2, v7, v2, v6
	s_addc_u32 s21, s21, 0
	s_cbranch_vccnz .LBB0_9
; %bb.7:                                ;   in Loop: Header=BB0_2 Depth=1
	v_mov_b32_e32 v5, v18
	v_mov_b32_e32 v6, v19
	s_branch .LBB0_2
.LBB0_8:
	v_mov_b32_e32 v17, v2
	v_mov_b32_e32 v19, v6
	;; [unrolled: 1-line block ×4, first 2 shown]
.LBB0_9:
	s_load_dwordx2 s[0:1], s[4:5], 0x28
	s_lshl_b64 s[6:7], s[14:15], 3
	s_add_u32 s2, s18, s6
	s_addc_u32 s3, s19, s7
                                        ; implicit-def: $vgpr20
                                        ; implicit-def: $vgpr3_vgpr4
	s_waitcnt lgkmcnt(0)
	v_cmp_gt_u64_e32 vcc, s[0:1], v[18:19]
	v_cmp_le_u64_e64 s[0:1], s[0:1], v[18:19]
	s_and_saveexec_b64 s[4:5], s[0:1]
	s_xor_b64 s[0:1], exec, s[4:5]
; %bb.10:
	s_mov_b32 s4, 0x4104105
	v_mul_hi_u32 v1, v0, s4
	v_mov_b32_e32 v21, 0
	v_mul_u32_u24_e32 v1, 63, v1
	v_sub_u32_e32 v20, v0, v1
	v_mov_b32_e32 v3, v20
	v_mov_b32_e32 v4, v21
                                        ; implicit-def: $vgpr0
                                        ; implicit-def: $vgpr1_vgpr2
; %bb.11:
	s_or_saveexec_b64 s[4:5], s[0:1]
	s_load_dwordx2 s[2:3], s[2:3], 0x0
	s_xor_b64 exec, exec, s[4:5]
	s_cbranch_execz .LBB0_15
; %bb.12:
	s_add_u32 s0, s16, s6
	s_addc_u32 s1, s17, s7
	s_load_dwordx2 s[0:1], s[0:1], 0x0
	s_mov_b32 s6, 0x4104105
	v_mul_hi_u32 v5, v0, s6
	v_mov_b32_e32 v21, 0
	s_waitcnt lgkmcnt(0)
	v_mul_lo_u32 v6, s1, v18
	v_mul_lo_u32 v7, s0, v19
	v_mad_u64_u32 v[3:4], s[0:1], s0, v18, 0
	v_mul_u32_u24_e32 v5, 63, v5
	v_sub_u32_e32 v20, v0, v5
	v_add3_u32 v4, v4, v7, v6
	v_lshlrev_b64 v[3:4], 3, v[3:4]
	v_mov_b32_e32 v0, s9
	v_add_co_u32_e64 v3, s[0:1], s8, v3
	v_addc_co_u32_e64 v4, s[0:1], v0, v4, s[0:1]
	v_lshlrev_b64 v[0:1], 3, v[1:2]
	v_lshlrev_b32_e32 v26, 3, v20
	v_add_co_u32_e64 v0, s[0:1], v3, v0
	v_addc_co_u32_e64 v1, s[0:1], v4, v1, s[0:1]
	v_add_co_u32_e64 v2, s[0:1], v0, v26
	v_addc_co_u32_e64 v3, s[0:1], 0, v1, s[0:1]
	global_load_dwordx2 v[4:5], v[2:3], off
	global_load_dwordx2 v[6:7], v[2:3], off offset:504
	global_load_dwordx2 v[8:9], v[2:3], off offset:1008
	;; [unrolled: 1-line block ×7, first 2 shown]
	v_add_u32_e32 v2, 0, v26
	v_add_u32_e32 v3, 0x400, v2
	v_add_u32_e32 v26, 0x800, v2
	v_cmp_eq_u32_e64 s[0:1], 62, v20
	s_waitcnt vmcnt(6)
	ds_write2_b64 v2, v[4:5], v[6:7] offset1:63
	s_waitcnt vmcnt(4)
	ds_write2_b64 v2, v[8:9], v[10:11] offset0:126 offset1:189
	s_waitcnt vmcnt(2)
	ds_write2_b64 v3, v[12:13], v[14:15] offset0:124 offset1:187
	;; [unrolled: 2-line block ×3, first 2 shown]
	v_mov_b32_e32 v3, v20
	v_mov_b32_e32 v4, v21
	s_and_saveexec_b64 s[6:7], s[0:1]
	s_cbranch_execz .LBB0_14
; %bb.13:
	global_load_dwordx2 v[0:1], v[0:1], off offset:4032
	v_mov_b32_e32 v3, 62
	v_mov_b32_e32 v4, 0
	;; [unrolled: 1-line block ×3, first 2 shown]
	s_waitcnt vmcnt(0)
	ds_write_b64 v21, v[0:1] offset:4032
.LBB0_14:
	s_or_b64 exec, exec, s[6:7]
.LBB0_15:
	s_or_b64 exec, exec, s[4:5]
	v_lshlrev_b32_e32 v0, 3, v20
	v_add_u32_e32 v28, 0, v0
	s_waitcnt lgkmcnt(0)
	; wave barrier
	s_waitcnt lgkmcnt(0)
	v_sub_u32_e32 v2, 0, v0
	ds_read_b32 v5, v28
	ds_read_b32 v6, v2 offset:4032
	v_lshlrev_b64 v[22:23], 3, v[3:4]
	v_cmp_ne_u32_e64 s[0:1], 0, v20
	s_waitcnt lgkmcnt(0)
	v_add_f32_e32 v0, v6, v5
	v_sub_f32_e32 v1, v5, v6
	s_and_saveexec_b64 s[4:5], s[0:1]
	s_xor_b64 s[4:5], exec, s[4:5]
	s_cbranch_execz .LBB0_17
; %bb.16:
	v_mov_b32_e32 v1, s13
	v_add_co_u32_e64 v0, s[0:1], s12, v22
	v_addc_co_u32_e64 v1, s[0:1], v1, v23, s[0:1]
	global_load_dwordx2 v[3:4], v[0:1], off offset:3976
	ds_read_b32 v0, v2 offset:4036
	ds_read_b32 v1, v28 offset:4
	v_add_f32_e32 v7, v6, v5
	v_sub_f32_e32 v8, v5, v6
	s_waitcnt lgkmcnt(0)
	v_add_f32_e32 v9, v0, v1
	v_sub_f32_e32 v0, v1, v0
	s_waitcnt vmcnt(0)
	v_fma_f32 v5, -v8, v4, v7
	v_fma_f32 v6, v9, v4, -v0
	v_fma_f32 v10, v8, v4, v7
	v_fma_f32 v1, v9, v4, v0
	v_fmac_f32_e32 v5, v3, v9
	v_fmac_f32_e32 v6, v8, v3
	v_fma_f32 v0, -v3, v9, v10
	v_fmac_f32_e32 v1, v8, v3
	ds_write_b64 v2, v[5:6] offset:4032
.LBB0_17:
	s_andn2_saveexec_b64 s[0:1], s[4:5]
	s_cbranch_execz .LBB0_19
; %bb.18:
	v_mov_b32_e32 v5, 0
	ds_read_b64 v[3:4], v5 offset:2016
	s_waitcnt lgkmcnt(0)
	v_add_f32_e32 v3, v3, v3
	v_mul_f32_e32 v4, -2.0, v4
	ds_write_b64 v5, v[3:4] offset:2016
.LBB0_19:
	s_or_b64 exec, exec, s[0:1]
	v_mov_b32_e32 v21, 0
	s_add_u32 s0, s12, 0xf88
	v_lshlrev_b64 v[24:25], 3, v[20:21]
	s_addc_u32 s1, s13, 0
	v_mov_b32_e32 v4, s1
	v_add_co_u32_e64 v3, s[0:1], s0, v24
	v_addc_co_u32_e64 v4, s[0:1], v4, v25, s[0:1]
	global_load_dwordx2 v[5:6], v[3:4], off offset:504
	global_load_dwordx2 v[7:8], v[3:4], off offset:1008
	;; [unrolled: 1-line block ×3, first 2 shown]
	ds_write_b64 v28, v[0:1]
	ds_read_b64 v[0:1], v28 offset:504
	ds_read_b64 v[3:4], v2 offset:3528
	v_add_u32_e32 v21, 0x800, v28
	v_add_u32_e32 v26, 0x400, v28
	s_mov_b32 s6, 0x3f3bfb3b
	s_mov_b32 s8, 0xbf3bfb3b
	s_waitcnt lgkmcnt(0)
	v_add_f32_e32 v11, v0, v3
	v_add_f32_e32 v12, v4, v1
	v_sub_f32_e32 v13, v0, v3
	v_sub_f32_e32 v0, v1, v4
	s_mov_b32 s0, 0xbeae86e6
	s_mov_b32 s7, 0x3f5ff5aa
	s_waitcnt vmcnt(2)
	v_fma_f32 v14, v13, v6, v11
	v_fma_f32 v1, v12, v6, v0
	v_fma_f32 v3, -v13, v6, v11
	v_fma_f32 v4, v12, v6, -v0
	v_fma_f32 v0, -v5, v12, v14
	v_fmac_f32_e32 v1, v13, v5
	v_fmac_f32_e32 v3, v5, v12
	;; [unrolled: 1-line block ×3, first 2 shown]
	ds_write_b64 v28, v[0:1] offset:504
	ds_write_b64 v2, v[3:4] offset:3528
	ds_read_b64 v[0:1], v28 offset:1008
	ds_read_b64 v[3:4], v2 offset:3024
	s_waitcnt lgkmcnt(0)
	v_add_f32_e32 v5, v0, v3
	v_add_f32_e32 v6, v4, v1
	v_sub_f32_e32 v11, v0, v3
	v_sub_f32_e32 v0, v1, v4
	s_waitcnt vmcnt(1)
	v_fma_f32 v12, v11, v8, v5
	v_fma_f32 v1, v6, v8, v0
	v_fma_f32 v3, -v11, v8, v5
	v_fma_f32 v4, v6, v8, -v0
	v_fma_f32 v0, -v7, v6, v12
	v_fmac_f32_e32 v1, v11, v7
	v_fmac_f32_e32 v3, v7, v6
	;; [unrolled: 1-line block ×3, first 2 shown]
	ds_write_b64 v28, v[0:1] offset:1008
	ds_write_b64 v2, v[3:4] offset:3024
	ds_read_b64 v[0:1], v28 offset:1512
	ds_read_b64 v[3:4], v2 offset:2520
	s_waitcnt lgkmcnt(0)
	v_add_f32_e32 v5, v0, v3
	v_add_f32_e32 v6, v4, v1
	v_sub_f32_e32 v7, v0, v3
	v_sub_f32_e32 v0, v1, v4
	s_waitcnt vmcnt(0)
	v_fma_f32 v8, v7, v10, v5
	v_fma_f32 v1, v6, v10, v0
	v_fma_f32 v3, -v7, v10, v5
	v_fma_f32 v4, v6, v10, -v0
	v_fma_f32 v0, -v9, v6, v8
	v_fmac_f32_e32 v1, v7, v9
	v_fmac_f32_e32 v3, v9, v6
	;; [unrolled: 1-line block ×3, first 2 shown]
	ds_write_b64 v28, v[0:1] offset:1512
	ds_write_b64 v2, v[3:4] offset:2520
	s_waitcnt lgkmcnt(0)
	; wave barrier
	s_waitcnt lgkmcnt(0)
	s_waitcnt lgkmcnt(0)
	; wave barrier
	s_waitcnt lgkmcnt(0)
	ds_read2_b64 v[0:3], v28 offset0:72 offset1:135
	ds_read2_b64 v[4:7], v21 offset0:176 offset1:239
	;; [unrolled: 1-line block ×6, first 2 shown]
	ds_read2_b64 v[44:47], v28 offset1:63
	s_waitcnt lgkmcnt(5)
	v_add_f32_e32 v26, v0, v4
	v_add_f32_e32 v21, v2, v6
	v_sub_f32_e32 v33, v2, v6
	s_waitcnt lgkmcnt(3)
	v_add_f32_e32 v2, v8, v12
	v_sub_f32_e32 v48, v0, v4
	v_add_f32_e32 v31, v10, v14
	v_sub_f32_e32 v35, v10, v14
	s_waitcnt lgkmcnt(1)
	v_add_f32_e32 v10, v36, v40
	v_add_f32_e32 v0, v2, v26
	;; [unrolled: 1-line block ×4, first 2 shown]
	v_sub_f32_e32 v29, v3, v7
	v_add_f32_e32 v3, v9, v13
	v_sub_f32_e32 v6, v9, v13
	v_add_f32_e32 v34, v11, v15
	v_add_f32_e32 v9, v10, v0
	v_sub_f32_e32 v4, v1, v5
	v_sub_f32_e32 v5, v8, v12
	;; [unrolled: 1-line block ×3, first 2 shown]
	v_add_f32_e32 v11, v37, v41
	v_sub_f32_e32 v12, v40, v36
	v_add_f32_e32 v40, v39, v43
	v_add_f32_e32 v1, v3, v27
	;; [unrolled: 1-line block ×3, first 2 shown]
	s_waitcnt lgkmcnt(0)
	v_add_f32_e32 v0, v44, v9
	v_sub_f32_e32 v13, v41, v37
	v_add_f32_e32 v36, v38, v42
	v_sub_f32_e32 v41, v42, v38
	v_sub_f32_e32 v39, v43, v39
	v_add_f32_e32 v7, v31, v21
	v_add_f32_e32 v38, v11, v1
	;; [unrolled: 1-line block ×3, first 2 shown]
	v_mov_b32_e32 v44, v0
	v_sub_f32_e32 v37, v2, v26
	v_add_f32_e32 v42, v36, v7
	v_add_f32_e32 v1, v45, v38
	;; [unrolled: 1-line block ×3, first 2 shown]
	v_fmac_f32_e32 v44, 0xbf955555, v9
	v_sub_f32_e32 v2, v10, v2
	v_add_f32_e32 v9, v13, v6
	v_sub_f32_e32 v47, v6, v4
	v_sub_f32_e32 v10, v26, v10
	v_add_f32_e32 v14, v46, v42
	v_mov_b32_e32 v45, v1
	v_sub_f32_e32 v8, v12, v5
	v_sub_f32_e32 v46, v13, v6
	v_add_f32_e32 v50, v9, v4
	v_mul_f32_e32 v6, 0x3d64c772, v2
	v_sub_f32_e32 v13, v4, v13
	v_mul_f32_e32 v26, 0x3f4a47b2, v10
	v_mul_f32_e32 v4, 0x3f5ff5aa, v47
	v_fmac_f32_e32 v45, 0xbf955555, v38
	v_sub_f32_e32 v38, v3, v27
	v_sub_f32_e32 v3, v11, v3
	v_add_f32_e32 v7, v12, v5
	v_sub_f32_e32 v5, v5, v48
	v_mul_f32_e32 v51, 0xbf08b237, v8
	v_fma_f32 v6, v37, s6, -v6
	v_fma_f32 v10, v37, s8, -v26
	;; [unrolled: 1-line block ×3, first 2 shown]
	v_sub_f32_e32 v11, v27, v11
	v_fma_f32 v52, v5, s7, -v51
	v_add_f32_e32 v10, v10, v44
	v_fmac_f32_e32 v37, 0x3ee1c552, v50
	v_sub_f32_e32 v12, v48, v12
	v_mul_f32_e32 v27, 0x3f4a47b2, v11
	v_mul_f32_e32 v5, 0x3f5ff5aa, v5
	v_add_f32_e32 v49, v7, v48
	v_add_f32_e32 v4, v37, v10
	v_sub_f32_e32 v10, v10, v37
	v_fma_f32 v11, v38, s8, -v27
	v_fma_f32 v37, v12, s0, -v5
	v_mul_f32_e32 v46, 0xbf08b237, v46
	v_mul_f32_e32 v7, 0x3d64c772, v3
	v_add_f32_e32 v11, v11, v45
	v_fmac_f32_e32 v37, 0x3ee1c552, v49
	v_fma_f32 v7, v38, s6, -v7
	v_fma_f32 v53, v47, s7, -v46
	v_sub_f32_e32 v5, v11, v37
	v_add_f32_e32 v11, v37, v11
	v_fmac_f32_e32 v26, 0x3d64c772, v2
	v_fmac_f32_e32 v27, 0x3d64c772, v3
	;; [unrolled: 1-line block ×4, first 2 shown]
	v_mov_b32_e32 v37, v14
	v_mov_b32_e32 v38, v15
	v_add_f32_e32 v8, v6, v44
	v_fmac_f32_e32 v52, 0x3ee1c552, v49
	v_add_f32_e32 v12, v26, v44
	v_add_f32_e32 v13, v27, v45
	v_fmac_f32_e32 v51, 0x3ee1c552, v49
	v_fmac_f32_e32 v46, 0x3ee1c552, v50
	v_fmac_f32_e32 v37, 0xbf955555, v42
	v_fmac_f32_e32 v38, 0xbf955555, v43
	v_sub_f32_e32 v26, v21, v36
	v_sub_f32_e32 v42, v36, v31
	;; [unrolled: 1-line block ×4, first 2 shown]
	v_add_f32_e32 v36, v41, v35
	v_sub_f32_e32 v43, v41, v35
	v_sub_f32_e32 v40, v33, v41
	v_add_f32_e32 v41, v39, v32
	v_sub_f32_e32 v49, v29, v39
	v_add_f32_e32 v9, v7, v45
	v_add_f32_e32 v2, v12, v46
	v_sub_f32_e32 v12, v12, v46
	v_sub_f32_e32 v45, v39, v32
	v_add_f32_e32 v48, v41, v29
	v_mul_f32_e32 v39, 0x3f4a47b2, v26
	v_mul_f32_e32 v41, 0x3f4a47b2, v27
	;; [unrolled: 1-line block ×4, first 2 shown]
	v_fmac_f32_e32 v53, 0x3ee1c552, v50
	v_mov_b32_e32 v26, v39
	v_mov_b32_e32 v27, v41
	;; [unrolled: 1-line block ×4, first 2 shown]
	v_add_f32_e32 v47, v36, v33
	v_fmac_f32_e32 v26, 0x3d64c772, v42
	v_fmac_f32_e32 v27, 0x3d64c772, v44
	;; [unrolled: 1-line block ×4, first 2 shown]
	v_add_f32_e32 v7, v52, v9
	v_sub_f32_e32 v9, v9, v52
	v_sub_f32_e32 v3, v13, v51
	v_add_f32_e32 v13, v51, v13
	v_add_f32_e32 v51, v26, v37
	;; [unrolled: 1-line block ×3, first 2 shown]
	v_fmac_f32_e32 v49, 0x3ee1c552, v47
	v_fmac_f32_e32 v50, 0x3ee1c552, v48
	v_sub_f32_e32 v6, v8, v53
	v_add_f32_e32 v8, v53, v8
	v_add_f32_e32 v26, v51, v50
	v_sub_f32_e32 v27, v52, v49
	v_mad_u32_u24 v36, v20, 48, v28
	v_cmp_gt_u32_e64 s[0:1], 9, v20
	s_waitcnt lgkmcnt(0)
	; wave barrier
	ds_write2_b64 v36, v[0:1], v[2:3] offset1:1
	ds_write2_b64 v36, v[4:5], v[6:7] offset0:2 offset1:3
	ds_write2_b64 v36, v[8:9], v[10:11] offset0:4 offset1:5
	ds_write_b64 v36, v[12:13] offset:48
	s_and_saveexec_b64 s[4:5], s[0:1]
	s_cbranch_execz .LBB0_21
; %bb.20:
	v_sub_f32_e32 v21, v31, v21
	v_mul_f32_e32 v44, 0x3d64c772, v44
	v_sub_f32_e32 v34, v34, v30
	v_fma_f32 v31, v21, s8, -v39
	v_mul_f32_e32 v53, 0x3d64c772, v42
	v_mul_f32_e32 v54, 0xbf08b237, v43
	;; [unrolled: 1-line block ×3, first 2 shown]
	v_sub_f32_e32 v33, v35, v33
	s_mov_b32 s0, 0xbf5ff5aa
	v_add_f32_e32 v39, v31, v37
	v_sub_f32_e32 v31, v32, v29
	v_fma_f32 v32, v34, s6, -v44
	v_mul_f32_e32 v47, 0x3ee1c552, v47
	v_mul_f32_e32 v48, 0x3ee1c552, v48
	v_fma_f32 v30, v34, s8, -v41
	v_fma_f32 v29, v31, s0, -v40
	v_add_f32_e32 v34, v32, v38
	v_fma_f32 v32, v33, s7, -v54
	v_fma_f32 v31, v31, s7, -v45
	v_fma_f32 v21, v21, s6, -v53
	v_fma_f32 v35, v33, s0, -v46
	v_add_f32_e32 v41, v30, v38
	v_add_f32_e32 v33, v47, v32
	;; [unrolled: 1-line block ×6, first 2 shown]
	v_sub_f32_e32 v32, v34, v33
	v_add_f32_e32 v31, v38, v21
	v_add_f32_e32 v34, v33, v34
	v_sub_f32_e32 v33, v21, v38
	v_add_u32_e32 v21, 0xdc8, v36
	v_sub_f32_e32 v38, v41, v35
	v_add_f32_e32 v37, v40, v39
	ds_write2_b64 v21, v[14:15], v[26:27] offset1:1
	v_add_u32_e32 v21, 0xdd8, v36
	v_add_f32_e32 v30, v35, v41
	v_sub_f32_e32 v29, v39, v40
	ds_write2_b64 v21, v[37:38], v[33:34] offset1:1
	v_add_u32_e32 v21, 0xde8, v36
	v_add_f32_e32 v43, v49, v52
	v_sub_f32_e32 v42, v51, v50
	ds_write2_b64 v21, v[31:32], v[29:30] offset1:1
	ds_write_b64 v36, v[42:43] offset:3576
.LBB0_21:
	s_or_b64 exec, exec, s[4:5]
	v_cmp_gt_u32_e64 s[0:1], 56, v20
	s_waitcnt lgkmcnt(0)
	; wave barrier
	s_waitcnt lgkmcnt(0)
	s_and_saveexec_b64 s[4:5], s[0:1]
	s_cbranch_execz .LBB0_23
; %bb.22:
	s_movk_i32 s6, 0xffd0
	v_add_u32_e32 v8, 0x400, v28
	v_add_u32_e32 v12, 0x800, v28
	v_mad_i32_i24 v21, v20, s6, v36
	ds_read2_b64 v[0:3], v28 offset1:56
	ds_read2_b64 v[4:7], v28 offset0:112 offset1:168
	ds_read2_b64 v[8:11], v8 offset0:96 offset1:152
	;; [unrolled: 1-line block ×3, first 2 shown]
	ds_read_b64 v[26:27], v21 offset:3584
.LBB0_23:
	s_or_b64 exec, exec, s[4:5]
	s_waitcnt lgkmcnt(0)
	; wave barrier
	s_waitcnt lgkmcnt(0)
	s_and_saveexec_b64 s[4:5], s[0:1]
	s_cbranch_execz .LBB0_25
; %bb.24:
	v_mov_b32_e32 v21, 37
	v_mul_lo_u16_sdwa v21, v20, v21 dst_sel:DWORD dst_unused:UNUSED_PAD src0_sel:BYTE_0 src1_sel:DWORD
	v_sub_u16_sdwa v29, v20, v21 dst_sel:DWORD dst_unused:UNUSED_PAD src0_sel:DWORD src1_sel:BYTE_1
	v_lshrrev_b16_e32 v29, 1, v29
	v_and_b32_e32 v29, 0x7f, v29
	v_add_u16_sdwa v21, v29, v21 dst_sel:DWORD dst_unused:UNUSED_PAD src0_sel:DWORD src1_sel:BYTE_1
	v_lshrrev_b16_e32 v21, 2, v21
	v_mul_lo_u16_e32 v29, 7, v21
	v_sub_u16_e32 v45, v20, v29
	v_mov_b32_e32 v29, 6
	v_lshlrev_b32_sdwa v46, v29, v45 dst_sel:DWORD dst_unused:UNUSED_PAD src0_sel:DWORD src1_sel:BYTE_0
	global_load_dwordx4 v[29:32], v46, s[12:13]
	global_load_dwordx4 v[33:36], v46, s[12:13] offset:48
	global_load_dwordx4 v[37:40], v46, s[12:13] offset:16
	;; [unrolled: 1-line block ×3, first 2 shown]
	v_mov_b32_e32 v46, 3
	v_lshlrev_b32_sdwa v45, v46, v45 dst_sel:DWORD dst_unused:UNUSED_PAD src0_sel:DWORD src1_sel:BYTE_0
	s_mov_b32 s0, 0xbf248dbb
	v_mov_b32_e32 v47, v1
	v_mov_b32_e32 v48, v0
	v_mul_u32_u24_e32 v21, 0x1f8, v21
	v_add3_u32 v21, 0, v21, v45
	s_waitcnt vmcnt(3)
	v_mul_f32_e32 v46, v3, v30
	s_waitcnt vmcnt(2)
	v_mul_f32_e32 v49, v27, v36
	v_mul_f32_e32 v52, v5, v32
	;; [unrolled: 1-line block ×3, first 2 shown]
	s_waitcnt vmcnt(1)
	v_mul_f32_e32 v54, v9, v40
	s_waitcnt vmcnt(0)
	v_mul_f32_e32 v55, v11, v42
	v_mul_f32_e32 v42, v10, v42
	;; [unrolled: 1-line block ×11, first 2 shown]
	v_fma_f32 v2, v2, v29, -v46
	v_fma_f32 v26, v26, v35, -v49
	;; [unrolled: 1-line block ×4, first 2 shown]
	v_fmac_f32_e32 v42, v11, v41
	v_fmac_f32_e32 v40, v9, v39
	v_fmac_f32_e32 v34, v15, v33
	v_fmac_f32_e32 v32, v5, v31
	v_fma_f32 v6, v6, v37, -v50
	v_fma_f32 v12, v12, v43, -v51
	;; [unrolled: 1-line block ×4, first 2 shown]
	v_fmac_f32_e32 v44, v13, v43
	v_fmac_f32_e32 v38, v7, v37
	;; [unrolled: 1-line block ×4, first 2 shown]
	v_sub_f32_e32 v27, v2, v26
	v_add_f32_e32 v37, v32, v34
	v_sub_f32_e32 v32, v32, v34
	v_sub_f32_e32 v34, v40, v42
	v_add_f32_e32 v43, v4, v14
	v_add_f32_e32 v26, v2, v26
	v_sub_f32_e32 v29, v6, v12
	v_sub_f32_e32 v33, v8, v10
	v_add_f32_e32 v39, v38, v44
	;; [unrolled: 4-line block ×3, first 2 shown]
	v_mul_f32_e32 v3, 0x3f7c1c5c, v34
	v_add_f32_e32 v12, v43, v26
	v_sub_f32_e32 v31, v4, v14
	v_add_f32_e32 v35, v40, v42
	v_mul_f32_e32 v2, 0x3f7c1c5c, v33
	v_add_f32_e32 v11, v37, v41
	v_add_f32_e32 v9, v33, v27
	v_fma_f32 v13, v32, s0, -v3
	v_add_f32_e32 v3, v44, v12
	v_add_f32_e32 v38, v8, v10
	v_fmac_f32_e32 v47, 0x3f441b7d, v37
	v_fmac_f32_e32 v48, 0x3f441b7d, v43
	v_fma_f32 v6, v31, s0, -v2
	v_add_f32_e32 v2, v39, v11
	v_add_f32_e32 v3, v8, v3
	v_sub_f32_e32 v8, v9, v31
	v_add_f32_e32 v9, v1, v39
	v_add_f32_e32 v11, v35, v11
	v_fmac_f32_e32 v47, 0x3e31d0d4, v35
	v_fmac_f32_e32 v48, 0x3e31d0d4, v38
	v_fmac_f32_e32 v9, -0.5, v11
	v_fmac_f32_e32 v6, 0x3f5db3d7, v29
	v_fmac_f32_e32 v47, -0.5, v39
	;; [unrolled: 2-line block ×3, first 2 shown]
	v_add_f32_e32 v7, v10, v3
	v_mul_f32_e32 v10, 0x3f5db3d7, v8
	v_fmac_f32_e32 v9, 0xbf5db3d7, v8
	v_add_f32_e32 v8, v34, v30
	v_add_f32_e32 v2, v40, v2
	v_fmac_f32_e32 v6, 0x3eaf1d44, v27
	v_fmac_f32_e32 v47, 0xbf708fb2, v41
	;; [unrolled: 1-line block ×4, first 2 shown]
	v_fma_f32 v11, 2.0, v10, v9
	v_sub_f32_e32 v10, v8, v32
	v_add_f32_e32 v8, v0, v44
	v_add_f32_e32 v12, v38, v12
	;; [unrolled: 1-line block ×3, first 2 shown]
	v_sub_f32_e32 v3, v47, v6
	v_add_f32_e32 v2, v13, v48
	v_fmac_f32_e32 v8, -0.5, v12
	v_add_f32_e32 v5, v1, v4
	v_add_f32_e32 v4, v0, v7
	v_fma_f32 v7, 2.0, v6, v3
	v_fma_f32 v6, -2.0, v13, v2
	v_mul_f32_e32 v13, 0x3f5db3d7, v10
	v_fmac_f32_e32 v8, 0x3f5db3d7, v10
	v_fma_f32 v10, -2.0, v13, v8
	v_mov_b32_e32 v13, v1
	v_mul_f32_e32 v12, 0xbf248dbb, v33
	v_fmac_f32_e32 v13, 0x3f441b7d, v35
	v_fmac_f32_e32 v12, 0x3f7c1c5c, v27
	;; [unrolled: 1-line block ×4, first 2 shown]
	v_fmac_f32_e32 v13, -0.5, v39
	v_fmac_f32_e32 v12, 0x3eaf1d44, v31
	v_fmac_f32_e32 v13, 0xbf708fb2, v37
	v_mul_f32_e32 v27, 0x3f248dbb, v27
	v_sub_f32_e32 v13, v13, v12
	v_fmac_f32_e32 v27, 0x3f7c1c5c, v31
	v_fma_f32 v15, 2.0, v12, v13
	v_mov_b32_e32 v12, v0
	v_fmac_f32_e32 v27, 0x3f5db3d7, v29
	v_mul_f32_e32 v29, 0x3f248dbb, v30
	v_fmac_f32_e32 v0, 0x3f441b7d, v26
	v_mul_f32_e32 v14, 0xbf248dbb, v34
	v_fmac_f32_e32 v12, 0x3f441b7d, v38
	v_fmac_f32_e32 v1, 0x3f441b7d, v41
	;; [unrolled: 1-line block ×8, first 2 shown]
	v_fmac_f32_e32 v0, -0.5, v44
	v_fmac_f32_e32 v14, 0xbf5db3d7, v36
	v_fmac_f32_e32 v12, -0.5, v44
	v_fmac_f32_e32 v1, -0.5, v39
	v_fmac_f32_e32 v29, 0x3eaf1d44, v34
	v_fmac_f32_e32 v0, 0xbf708fb2, v38
	;; [unrolled: 1-line block ×6, first 2 shown]
	v_add_f32_e32 v0, v29, v0
	v_add_f32_e32 v12, v14, v12
	v_sub_f32_e32 v1, v1, v27
	v_mov_b32_e32 v26, v0
	v_fma_f32 v14, -2.0, v14, v12
	v_fma_f32 v27, 2.0, v27, v1
	v_fmac_f32_e32 v26, -2.0, v29
	ds_write2_b64 v21, v[4:5], v[0:1] offset1:7
	ds_write2_b64 v21, v[12:13], v[8:9] offset0:14 offset1:21
	ds_write2_b64 v21, v[2:3], v[6:7] offset0:28 offset1:35
	;; [unrolled: 1-line block ×3, first 2 shown]
	ds_write_b64 v21, v[26:27] offset:448
.LBB0_25:
	s_or_b64 exec, exec, s[4:5]
	v_mul_u32_u24_e32 v0, 3, v20
	v_lshlrev_b32_e32 v4, 3, v0
	s_waitcnt lgkmcnt(0)
	; wave barrier
	s_waitcnt lgkmcnt(0)
	global_load_dwordx4 v[0:3], v4, s[12:13] offset:448
	global_load_dwordx2 v[26:27], v4, s[12:13] offset:464
	v_add_u32_e32 v33, 0x400, v28
	ds_read2_b64 v[4:7], v28 offset1:63
	ds_read2_b64 v[8:11], v28 offset0:126 offset1:189
	ds_read_b64 v[29:30], v28 offset:3024
	v_add_u32_e32 v21, 0xc00, v28
	ds_read2_b64 v[12:15], v33 offset0:124 offset1:187
	ds_read2_b32 v[31:32], v21 offset0:114 offset1:115
	v_mov_b32_e32 v35, s13
	v_add_co_u32_e64 v21, s[0:1], s12, v22
	v_addc_co_u32_e64 v22, s[0:1], v35, v23, s[0:1]
	v_add_u32_e32 v34, 0x800, v28
	s_waitcnt lgkmcnt(0)
	; wave barrier
	s_waitcnt vmcnt(1) lgkmcnt(0)
	v_mul_f32_e32 v23, v1, v9
	v_mul_f32_e32 v36, v1, v8
	;; [unrolled: 1-line block ×4, first 2 shown]
	s_waitcnt vmcnt(0)
	v_mul_f32_e32 v39, v27, v30
	v_mul_f32_e32 v40, v27, v29
	;; [unrolled: 1-line block ×8, first 2 shown]
	v_fma_f32 v8, v0, v8, -v23
	v_fmac_f32_e32 v36, v0, v9
	v_fma_f32 v9, v2, v12, -v37
	v_fmac_f32_e32 v38, v2, v13
	;; [unrolled: 2-line block ×6, first 2 shown]
	v_sub_f32_e32 v9, v4, v9
	v_sub_f32_e32 v11, v5, v38
	;; [unrolled: 1-line block ×8, first 2 shown]
	v_fma_f32 v23, v4, 2.0, -v9
	v_fma_f32 v26, v5, 2.0, -v11
	;; [unrolled: 1-line block ×4, first 2 shown]
	v_sub_f32_e32 v0, v9, v12
	v_fma_f32 v27, v6, 2.0, -v13
	v_fma_f32 v29, v7, 2.0, -v14
	v_fma_f32 v8, v10, 2.0, -v3
	v_fma_f32 v10, v42, 2.0, -v15
	v_add_f32_e32 v1, v11, v2
	v_sub_f32_e32 v2, v13, v15
	v_add_f32_e32 v3, v14, v3
	v_sub_f32_e32 v4, v23, v4
	v_sub_f32_e32 v5, v26, v5
	v_fma_f32 v6, v9, 2.0, -v0
	v_sub_f32_e32 v8, v27, v8
	v_sub_f32_e32 v9, v29, v10
	v_fma_f32 v7, v11, 2.0, -v1
	v_fma_f32 v10, v13, 2.0, -v2
	;; [unrolled: 1-line block ×7, first 2 shown]
	ds_write2_b64 v28, v[4:5], v[0:1] offset0:126 offset1:189
	ds_write2_b64 v34, v[8:9], v[2:3] offset0:122 offset1:185
	ds_write2_b64 v28, v[12:13], v[6:7] offset1:63
	ds_write2_b64 v33, v[14:15], v[10:11] offset0:124 offset1:187
	v_add_co_u32_e64 v0, s[0:1], s12, v24
	v_addc_co_u32_e64 v1, s[0:1], v35, v25, s[0:1]
	s_waitcnt lgkmcnt(0)
	; wave barrier
	s_waitcnt lgkmcnt(0)
	global_load_dwordx2 v[21:22], v[21:22], off offset:1960
	s_nop 0
	global_load_dwordx2 v[23:24], v[0:1], off offset:2464
	global_load_dwordx2 v[25:26], v[0:1], off offset:2968
	;; [unrolled: 1-line block ×3, first 2 shown]
	ds_read2_b64 v[0:3], v28 offset1:63
	ds_read2_b64 v[4:7], v33 offset0:124 offset1:187
	ds_read2_b64 v[8:11], v28 offset0:126 offset1:189
	;; [unrolled: 1-line block ×3, first 2 shown]
	s_waitcnt lgkmcnt(0)
	; wave barrier
	s_waitcnt vmcnt(2) lgkmcnt(0)
	v_mul_f32_e32 v31, v24, v7
	v_mul_f32_e32 v27, v22, v5
	;; [unrolled: 1-line block ×4, first 2 shown]
	s_waitcnt vmcnt(1)
	v_mul_f32_e32 v32, v26, v13
	v_mul_f32_e32 v26, v26, v12
	s_waitcnt vmcnt(0)
	v_mul_f32_e32 v35, v30, v15
	v_mul_f32_e32 v30, v30, v14
	v_fma_f32 v4, v21, v4, -v27
	v_fmac_f32_e32 v22, v21, v5
	v_fma_f32 v6, v23, v6, -v31
	v_fmac_f32_e32 v24, v23, v7
	;; [unrolled: 2-line block ×4, first 2 shown]
	v_sub_f32_e32 v4, v0, v4
	v_sub_f32_e32 v5, v1, v22
	;; [unrolled: 1-line block ×8, first 2 shown]
	v_fma_f32 v0, v0, 2.0, -v4
	v_fma_f32 v1, v1, 2.0, -v5
	v_fma_f32 v2, v2, 2.0, -v6
	v_fma_f32 v3, v3, 2.0, -v7
	v_fma_f32 v8, v8, 2.0, -v12
	v_fma_f32 v9, v9, 2.0, -v13
	v_fma_f32 v10, v10, 2.0, -v14
	v_fma_f32 v11, v11, 2.0, -v15
	ds_write2_b64 v33, v[4:5], v[6:7] offset0:124 offset1:187
	ds_write2_b64 v34, v[12:13], v[14:15] offset0:122 offset1:185
	ds_write2_b64 v28, v[0:1], v[2:3] offset1:63
	ds_write2_b64 v28, v[8:9], v[10:11] offset0:126 offset1:189
	s_waitcnt lgkmcnt(0)
	; wave barrier
	s_waitcnt lgkmcnt(0)
	s_and_saveexec_b64 s[0:1], vcc
	s_cbranch_execz .LBB0_27
; %bb.26:
	v_mul_lo_u32 v0, s3, v18
	v_mul_lo_u32 v1, s2, v19
	v_mad_u64_u32 v[4:5], s[0:1], s2, v18, 0
	v_mov_b32_e32 v7, s11
	v_lshl_add_u32 v6, v20, 3, 0
	v_add3_u32 v5, v5, v1, v0
	v_lshlrev_b64 v[4:5], 3, v[4:5]
	v_mov_b32_e32 v21, 0
	v_add_co_u32_e32 v8, vcc, s10, v4
	v_addc_co_u32_e32 v7, vcc, v7, v5, vcc
	v_lshlrev_b64 v[4:5], 3, v[16:17]
	ds_read2_b64 v[0:3], v6 offset1:63
	v_add_co_u32_e32 v8, vcc, v8, v4
	v_addc_co_u32_e32 v7, vcc, v7, v5, vcc
	v_lshlrev_b64 v[4:5], 3, v[20:21]
	v_add_co_u32_e32 v4, vcc, v8, v4
	v_addc_co_u32_e32 v5, vcc, v7, v5, vcc
	s_waitcnt lgkmcnt(0)
	global_store_dwordx2 v[4:5], v[0:1], off
	v_add_u32_e32 v0, 63, v20
	v_mov_b32_e32 v1, v21
	v_lshlrev_b64 v[0:1], 3, v[0:1]
	v_add_u32_e32 v4, 0x7e, v20
	v_add_co_u32_e32 v0, vcc, v8, v0
	v_addc_co_u32_e32 v1, vcc, v7, v1, vcc
	global_store_dwordx2 v[0:1], v[2:3], off
	v_mov_b32_e32 v5, v21
	ds_read2_b64 v[0:3], v6 offset0:126 offset1:189
	v_lshlrev_b64 v[4:5], 3, v[4:5]
	v_add_co_u32_e32 v4, vcc, v8, v4
	v_addc_co_u32_e32 v5, vcc, v7, v5, vcc
	s_waitcnt lgkmcnt(0)
	global_store_dwordx2 v[4:5], v[0:1], off
	v_add_u32_e32 v0, 0xbd, v20
	v_mov_b32_e32 v1, v21
	v_lshlrev_b64 v[0:1], 3, v[0:1]
	v_add_u32_e32 v4, 0xfc, v20
	v_add_co_u32_e32 v0, vcc, v8, v0
	v_addc_co_u32_e32 v1, vcc, v7, v1, vcc
	global_store_dwordx2 v[0:1], v[2:3], off
	v_add_u32_e32 v0, 0x400, v6
	v_mov_b32_e32 v5, v21
	ds_read2_b64 v[0:3], v0 offset0:124 offset1:187
	v_lshlrev_b64 v[4:5], 3, v[4:5]
	v_add_co_u32_e32 v4, vcc, v8, v4
	v_addc_co_u32_e32 v5, vcc, v7, v5, vcc
	s_waitcnt lgkmcnt(0)
	global_store_dwordx2 v[4:5], v[0:1], off
	v_add_u32_e32 v0, 0x13b, v20
	v_mov_b32_e32 v1, v21
	v_lshlrev_b64 v[0:1], 3, v[0:1]
	v_add_u32_e32 v4, 0x17a, v20
	v_add_co_u32_e32 v0, vcc, v8, v0
	v_addc_co_u32_e32 v1, vcc, v7, v1, vcc
	global_store_dwordx2 v[0:1], v[2:3], off
	v_add_u32_e32 v0, 0x800, v6
	v_mov_b32_e32 v5, v21
	ds_read2_b64 v[0:3], v0 offset0:122 offset1:185
	v_lshlrev_b64 v[4:5], 3, v[4:5]
	v_add_u32_e32 v20, 0x1b9, v20
	v_add_co_u32_e32 v4, vcc, v8, v4
	v_addc_co_u32_e32 v5, vcc, v7, v5, vcc
	s_waitcnt lgkmcnt(0)
	global_store_dwordx2 v[4:5], v[0:1], off
	v_lshlrev_b64 v[0:1], 3, v[20:21]
	v_add_co_u32_e32 v0, vcc, v8, v0
	v_addc_co_u32_e32 v1, vcc, v7, v1, vcc
	global_store_dwordx2 v[0:1], v[2:3], off
.LBB0_27:
	s_endpgm
	.section	.rodata,"a",@progbits
	.p2align	6, 0x0
	.amdhsa_kernel fft_rtc_fwd_len504_factors_7_9_4_2_wgs_63_tpt_63_sp_op_CI_CI_unitstride_sbrr_C2R_dirReg
		.amdhsa_group_segment_fixed_size 0
		.amdhsa_private_segment_fixed_size 0
		.amdhsa_kernarg_size 104
		.amdhsa_user_sgpr_count 6
		.amdhsa_user_sgpr_private_segment_buffer 1
		.amdhsa_user_sgpr_dispatch_ptr 0
		.amdhsa_user_sgpr_queue_ptr 0
		.amdhsa_user_sgpr_kernarg_segment_ptr 1
		.amdhsa_user_sgpr_dispatch_id 0
		.amdhsa_user_sgpr_flat_scratch_init 0
		.amdhsa_user_sgpr_private_segment_size 0
		.amdhsa_uses_dynamic_stack 0
		.amdhsa_system_sgpr_private_segment_wavefront_offset 0
		.amdhsa_system_sgpr_workgroup_id_x 1
		.amdhsa_system_sgpr_workgroup_id_y 0
		.amdhsa_system_sgpr_workgroup_id_z 0
		.amdhsa_system_sgpr_workgroup_info 0
		.amdhsa_system_vgpr_workitem_id 0
		.amdhsa_next_free_vgpr 56
		.amdhsa_next_free_sgpr 28
		.amdhsa_reserve_vcc 1
		.amdhsa_reserve_flat_scratch 0
		.amdhsa_float_round_mode_32 0
		.amdhsa_float_round_mode_16_64 0
		.amdhsa_float_denorm_mode_32 3
		.amdhsa_float_denorm_mode_16_64 3
		.amdhsa_dx10_clamp 1
		.amdhsa_ieee_mode 1
		.amdhsa_fp16_overflow 0
		.amdhsa_exception_fp_ieee_invalid_op 0
		.amdhsa_exception_fp_denorm_src 0
		.amdhsa_exception_fp_ieee_div_zero 0
		.amdhsa_exception_fp_ieee_overflow 0
		.amdhsa_exception_fp_ieee_underflow 0
		.amdhsa_exception_fp_ieee_inexact 0
		.amdhsa_exception_int_div_zero 0
	.end_amdhsa_kernel
	.text
.Lfunc_end0:
	.size	fft_rtc_fwd_len504_factors_7_9_4_2_wgs_63_tpt_63_sp_op_CI_CI_unitstride_sbrr_C2R_dirReg, .Lfunc_end0-fft_rtc_fwd_len504_factors_7_9_4_2_wgs_63_tpt_63_sp_op_CI_CI_unitstride_sbrr_C2R_dirReg
                                        ; -- End function
	.section	.AMDGPU.csdata,"",@progbits
; Kernel info:
; codeLenInByte = 5664
; NumSgprs: 32
; NumVgprs: 56
; ScratchSize: 0
; MemoryBound: 0
; FloatMode: 240
; IeeeMode: 1
; LDSByteSize: 0 bytes/workgroup (compile time only)
; SGPRBlocks: 3
; VGPRBlocks: 13
; NumSGPRsForWavesPerEU: 32
; NumVGPRsForWavesPerEU: 56
; Occupancy: 4
; WaveLimiterHint : 1
; COMPUTE_PGM_RSRC2:SCRATCH_EN: 0
; COMPUTE_PGM_RSRC2:USER_SGPR: 6
; COMPUTE_PGM_RSRC2:TRAP_HANDLER: 0
; COMPUTE_PGM_RSRC2:TGID_X_EN: 1
; COMPUTE_PGM_RSRC2:TGID_Y_EN: 0
; COMPUTE_PGM_RSRC2:TGID_Z_EN: 0
; COMPUTE_PGM_RSRC2:TIDIG_COMP_CNT: 0
	.type	__hip_cuid_89543e1868e807f1,@object ; @__hip_cuid_89543e1868e807f1
	.section	.bss,"aw",@nobits
	.globl	__hip_cuid_89543e1868e807f1
__hip_cuid_89543e1868e807f1:
	.byte	0                               ; 0x0
	.size	__hip_cuid_89543e1868e807f1, 1

	.ident	"AMD clang version 19.0.0git (https://github.com/RadeonOpenCompute/llvm-project roc-6.4.0 25133 c7fe45cf4b819c5991fe208aaa96edf142730f1d)"
	.section	".note.GNU-stack","",@progbits
	.addrsig
	.addrsig_sym __hip_cuid_89543e1868e807f1
	.amdgpu_metadata
---
amdhsa.kernels:
  - .args:
      - .actual_access:  read_only
        .address_space:  global
        .offset:         0
        .size:           8
        .value_kind:     global_buffer
      - .offset:         8
        .size:           8
        .value_kind:     by_value
      - .actual_access:  read_only
        .address_space:  global
        .offset:         16
        .size:           8
        .value_kind:     global_buffer
      - .actual_access:  read_only
        .address_space:  global
        .offset:         24
        .size:           8
        .value_kind:     global_buffer
      - .actual_access:  read_only
        .address_space:  global
        .offset:         32
        .size:           8
        .value_kind:     global_buffer
      - .offset:         40
        .size:           8
        .value_kind:     by_value
      - .actual_access:  read_only
        .address_space:  global
        .offset:         48
        .size:           8
        .value_kind:     global_buffer
      - .actual_access:  read_only
        .address_space:  global
        .offset:         56
        .size:           8
        .value_kind:     global_buffer
      - .offset:         64
        .size:           4
        .value_kind:     by_value
      - .actual_access:  read_only
        .address_space:  global
        .offset:         72
        .size:           8
        .value_kind:     global_buffer
      - .actual_access:  read_only
        .address_space:  global
        .offset:         80
        .size:           8
        .value_kind:     global_buffer
      - .actual_access:  read_only
        .address_space:  global
        .offset:         88
        .size:           8
        .value_kind:     global_buffer
      - .actual_access:  write_only
        .address_space:  global
        .offset:         96
        .size:           8
        .value_kind:     global_buffer
    .group_segment_fixed_size: 0
    .kernarg_segment_align: 8
    .kernarg_segment_size: 104
    .language:       OpenCL C
    .language_version:
      - 2
      - 0
    .max_flat_workgroup_size: 63
    .name:           fft_rtc_fwd_len504_factors_7_9_4_2_wgs_63_tpt_63_sp_op_CI_CI_unitstride_sbrr_C2R_dirReg
    .private_segment_fixed_size: 0
    .sgpr_count:     32
    .sgpr_spill_count: 0
    .symbol:         fft_rtc_fwd_len504_factors_7_9_4_2_wgs_63_tpt_63_sp_op_CI_CI_unitstride_sbrr_C2R_dirReg.kd
    .uniform_work_group_size: 1
    .uses_dynamic_stack: false
    .vgpr_count:     56
    .vgpr_spill_count: 0
    .wavefront_size: 64
amdhsa.target:   amdgcn-amd-amdhsa--gfx906
amdhsa.version:
  - 1
  - 2
...

	.end_amdgpu_metadata
